;; amdgpu-corpus repo=zjin-lcf/HeCBench kind=compiled arch=gfx1030 opt=O3
	.amdgcn_target "amdgcn-amd-amdhsa--gfx1030"
	.amdhsa_code_object_version 6
	.text
	.protected	_Z3attPKiS0_PfS1_S1_S1_S1_iii ; -- Begin function _Z3attPKiS0_PfS1_S1_S1_S1_iii
	.globl	_Z3attPKiS0_PfS1_S1_S1_S1_iii
	.p2align	8
	.type	_Z3attPKiS0_PfS1_S1_S1_S1_iii,@function
_Z3attPKiS0_PfS1_S1_S1_S1_iii:          ; @_Z3attPKiS0_PfS1_S1_S1_S1_iii
; %bb.0:
	s_clause 0x1
	s_load_dword s0, s[4:5], 0x54
	s_load_dwordx4 s[8:11], s[4:5], 0x38
	s_waitcnt lgkmcnt(0)
	s_and_b32 s0, s0, 0xffff
	v_mad_u64_u32 v[0:1], null, s6, s0, v[0:1]
	s_mov_b32 s0, exec_lo
	v_cmpx_gt_i32_e64 s10, v0
	s_cbranch_execz .LBB0_18
; %bb.1:
	s_clause 0x1
	s_load_dwordx4 s[0:3], s[4:5], 0x0
	s_load_dwordx2 s[6:7], s[4:5], 0x18
	v_ashrrev_i32_e32 v1, 31, v0
	s_load_dwordx2 s[12:13], s[4:5], 0x30
	v_lshlrev_b64 v[0:1], 2, v[0:1]
	s_waitcnt lgkmcnt(0)
	v_add_co_u32 v2, vcc_lo, s0, v0
	v_add_co_ci_u32_e64 v3, null, s1, v1, vcc_lo
	v_add_co_u32 v0, vcc_lo, s2, v0
	v_add_co_ci_u32_e64 v1, null, s3, v1, vcc_lo
	global_load_dword v10, v[2:3], off
	global_load_dword v4, v[0:1], off
	s_mul_i32 s0, s9, s8
	s_ashr_i32 s3, s9, 31
	s_mov_b32 s2, s9
	s_lshl_b64 s[10:11], s[2:3], 2
	s_waitcnt vmcnt(1)
	v_mul_lo_u32 v0, s0, v10
	s_waitcnt vmcnt(0)
	v_mul_lo_u32 v5, v4, s9
	s_mov_b32 s0, exec_lo
	v_ashrrev_i32_e32 v1, 31, v0
	v_ashrrev_i32_e32 v6, 31, v5
	v_lshlrev_b64 v[2:3], 2, v[0:1]
	v_lshlrev_b64 v[0:1], 2, v[5:6]
	v_cmpx_ne_u32_e32 0, v4
	s_xor_b32 s1, exec_lo, s0
	s_cbranch_execz .LBB0_11
; %bb.2:
	v_add_nc_u32_e32 v5, -1, v4
	s_add_i32 s0, s8, -1
	v_mul_lo_u32 v8, v5, s9
	v_ashrrev_i32_e32 v9, 31, v8
	v_lshlrev_b64 v[5:6], 2, v[8:9]
	v_add_co_u32 v9, vcc_lo, s6, v2
	v_add_co_ci_u32_e64 v11, null, s7, v3, vcc_lo
	v_cmp_ne_u32_e32 vcc_lo, s0, v4
	v_add_co_u32 v4, s0, v9, v5
	v_add_co_ci_u32_e64 v5, null, v11, v6, s0
	v_add_co_u32 v6, s0, v9, v0
	v_add_co_ci_u32_e64 v7, null, v11, v1, s0
	s_and_saveexec_b32 s0, vcc_lo
	s_xor_b32 s8, exec_lo, s0
	s_cbranch_execz .LBB0_6
; %bb.3:
	s_cmp_lt_i32 s9, 1
	s_cbranch_scc1 .LBB0_6
; %bb.4:
	v_lshl_add_u32 v12, s9, 1, v8
	s_lshl_b64 s[14:15], s[2:3], 3
	s_mov_b64 s[16:17], s[12:13]
	s_mov_b32 s18, s9
	v_ashrrev_i32_e32 v13, 31, v12
	v_lshlrev_b64 v[12:13], 2, v[12:13]
	v_add_co_u32 v8, vcc_lo, v9, v12
	v_add_co_ci_u32_e64 v9, null, v11, v13, vcc_lo
	v_mov_b32_e32 v11, 0
.LBB0_5:                                ; =>This Inner Loop Header: Depth=1
	global_load_dword v12, v[4:5], off
	global_load_dword v13, v[8:9], off
	;; [unrolled: 1-line block ×3, first 2 shown]
	v_add_co_u32 v4, vcc_lo, v4, 4
	v_add_co_ci_u32_e64 v5, null, 0, v5, vcc_lo
	v_add_co_u32 v6, vcc_lo, v6, 4
	v_add_co_ci_u32_e64 v7, null, 0, v7, vcc_lo
	s_add_u32 s20, s16, s10
	s_addc_u32 s21, s17, s11
	s_add_u32 s22, s16, s14
	s_addc_u32 s23, s17, s15
	s_add_i32 s18, s18, -1
	s_waitcnt vmcnt(1)
	v_sub_f32_e32 v15, v12, v13
	s_waitcnt vmcnt(0)
	v_fmac_f32_e32 v12, -2.0, v14
	v_div_scale_f32 v19, vcc_lo, v15, 0x3e4ccccd, v15
	v_add_f32_e32 v12, v13, v12
	v_div_scale_f32 v13, null, 0x3e4ccccd, 0x3e4ccccd, v15
	v_div_scale_f32 v16, null, 0x3ca3d70b, 0x3ca3d70b, v12
	v_rcp_f32_e32 v17, v13
	v_div_scale_f32 v20, s0, v12, 0x3ca3d70b, v12
	v_rcp_f32_e32 v18, v16
	v_fma_f32 v21, -v13, v17, 1.0
	v_fma_f32 v22, -v16, v18, 1.0
	v_fmac_f32_e32 v17, v21, v17
	v_fmac_f32_e32 v18, v22, v18
	v_mul_f32_e32 v21, v19, v17
	v_mul_f32_e32 v22, v20, v18
	v_fma_f32 v23, -v13, v21, v19
	v_fma_f32 v24, -v16, v22, v20
	v_fmac_f32_e32 v21, v23, v17
	v_fmac_f32_e32 v22, v24, v18
	v_fma_f32 v13, -v13, v21, v19
	v_fma_f32 v16, -v16, v22, v20
	v_div_fmas_f32 v13, v13, v17, v21
	s_mov_b32 vcc_lo, s0
	v_div_fmas_f32 v16, v16, v18, v22
	v_add_co_u32 v8, vcc_lo, v8, 4
	v_div_fixup_f32 v13, v13, 0x3e4ccccd, v15
	v_add_co_ci_u32_e64 v9, null, 0, v9, vcc_lo
	v_div_fixup_f32 v12, v16, 0x3ca3d70b, v12
	v_fmac_f32_e32 v14, 0x3e99999a, v13
	v_mul_f32_e32 v15, 0x3e99999a, v12
	v_add_f32_e32 v16, v12, v12
	v_fmac_f32_e32 v14, 0x3e99999a, v15
	v_fmac_f32_e32 v13, 0x3e99999a, v16
	global_store_dword v11, v14, s[16:17]
	s_add_u32 s16, s16, 4
	s_addc_u32 s17, s17, 0
	s_cmp_lg_u32 s18, 0
	global_store_dword v11, v13, s[20:21]
	global_store_dword v11, v12, s[22:23]
	s_cbranch_scc1 .LBB0_5
.LBB0_6:
	s_andn2_saveexec_b32 s8, s8
	s_cbranch_execz .LBB0_10
; %bb.7:
	s_cmp_lt_i32 s9, 1
	s_cbranch_scc1 .LBB0_10
; %bb.8:
	v_mov_b32_e32 v8, 0
	s_lshl_b64 s[14:15], s[2:3], 3
	s_mov_b64 s[16:17], s[12:13]
	s_mov_b32 s18, s9
.LBB0_9:                                ; =>This Inner Loop Header: Depth=1
	global_load_dword v9, v[4:5], off
	global_load_dword v11, v[6:7], off
	s_add_u32 s20, s16, s10
	v_add_co_u32 v4, s0, v4, 4
	s_addc_u32 s21, s17, s11
	s_add_u32 s22, s16, s14
	v_add_co_ci_u32_e64 v5, null, 0, v5, s0
	s_addc_u32 s23, s17, s15
	s_add_i32 s18, s18, -1
	s_waitcnt vmcnt(0)
	v_sub_f32_e32 v9, v11, v9
	v_div_scale_f32 v12, null, 0x3dcccccd, 0x3dcccccd, v9
	v_div_scale_f32 v15, vcc_lo, v9, 0x3dcccccd, v9
	v_rcp_f32_e32 v13, v12
	v_fma_f32 v14, -v12, v13, 1.0
	v_fmac_f32_e32 v13, v14, v13
	v_mul_f32_e32 v14, v15, v13
	v_fma_f32 v16, -v12, v14, v15
	v_fmac_f32_e32 v14, v16, v13
	v_fma_f32 v12, -v12, v14, v15
	v_div_fmas_f32 v12, v12, v13, v14
	v_add_co_u32 v6, vcc_lo, v6, 4
	v_add_co_ci_u32_e64 v7, null, 0, v7, vcc_lo
	v_div_fixup_f32 v9, v12, 0x3dcccccd, v9
	v_fmac_f32_e32 v11, 0x3e99999a, v9
	global_store_dword v8, v11, s[16:17]
	s_add_u32 s16, s16, 4
	s_addc_u32 s17, s17, 0
	s_cmp_eq_u32 s18, 0
	global_store_dword v8, v9, s[20:21]
	global_store_dword v8, v8, s[22:23]
	s_cbranch_scc0 .LBB0_9
.LBB0_10:
	s_or_b32 exec_lo, exec_lo, s8
.LBB0_11:
	s_andn2_saveexec_b32 s8, s1
	s_cbranch_execz .LBB0_15
; %bb.12:
	s_cmp_lt_i32 s9, 1
	s_cbranch_scc1 .LBB0_15
; %bb.13:
	v_add_co_u32 v4, vcc_lo, s6, v2
	v_add_co_ci_u32_e64 v5, null, s7, v3, vcc_lo
	v_mov_b32_e32 v6, 0
	s_lshl_b64 s[0:1], s[2:3], 3
	s_mov_b64 s[6:7], s[12:13]
	s_mov_b32 s3, s9
.LBB0_14:                               ; =>This Inner Loop Header: Depth=1
	v_add_co_u32 v7, vcc_lo, v4, v0
	v_add_co_ci_u32_e64 v8, null, v5, v1, vcc_lo
	v_add_co_u32 v11, vcc_lo, v4, s10
	v_add_co_ci_u32_e64 v12, null, s11, v5, vcc_lo
	s_clause 0x1
	global_load_dword v7, v[7:8], off
	global_load_dword v8, v[11:12], off
	s_add_u32 s14, s6, s10
	s_addc_u32 s15, s7, s11
	s_add_u32 s16, s6, s0
	s_addc_u32 s17, s7, s1
	s_add_i32 s3, s3, -1
	s_waitcnt vmcnt(0)
	v_sub_f32_e32 v8, v8, v7
	v_div_scale_f32 v9, null, 0x3dcccccd, 0x3dcccccd, v8
	v_div_scale_f32 v13, vcc_lo, v8, 0x3dcccccd, v8
	v_rcp_f32_e32 v11, v9
	v_fma_f32 v12, -v9, v11, 1.0
	v_fmac_f32_e32 v11, v12, v11
	v_mul_f32_e32 v12, v13, v11
	v_fma_f32 v14, -v9, v12, v13
	v_fmac_f32_e32 v12, v14, v11
	v_fma_f32 v9, -v9, v12, v13
	v_div_fmas_f32 v9, v9, v11, v12
	v_add_co_u32 v4, vcc_lo, v4, 4
	v_add_co_ci_u32_e64 v5, null, 0, v5, vcc_lo
	v_div_fixup_f32 v8, v9, 0x3dcccccd, v8
	v_fmac_f32_e32 v7, 0x3e99999a, v8
	global_store_dword v6, v7, s[6:7]
	s_add_u32 s6, s6, 4
	s_addc_u32 s7, s7, 0
	s_cmp_eq_u32 s3, 0
	global_store_dword v6, v8, s[14:15]
	global_store_dword v6, v6, s[16:17]
	s_cbranch_scc0 .LBB0_14
.LBB0_15:
	s_or_b32 exec_lo, exec_lo, s8
	s_cmp_lt_i32 s9, 1
	s_cbranch_scc1 .LBB0_18
; %bb.16:
	s_clause 0x1
	s_load_dwordx2 s[0:1], s[4:5], 0x10
	s_load_dwordx4 s[4:7], s[4:5], 0x20
	v_mul_lo_u32 v5, v10, s9
	s_add_u32 s3, s12, s10
	s_addc_u32 s12, s13, s11
	v_mov_b32_e32 v4, 0
	s_add_u32 s3, s3, s10
	s_addc_u32 s13, s12, s11
	s_add_u32 s12, s3, s10
	s_mul_hi_i32 s8, s2, 0xffffffe4
	v_ashrrev_i32_e32 v6, 31, v5
	s_addc_u32 s13, s13, s11
	s_mul_i32 s28, s2, 0xffffffe4
	s_mul_hi_i32 s29, s2, 24
	s_mul_i32 s30, s2, 24
	v_lshlrev_b64 v[5:6], 2, v[5:6]
	s_waitcnt lgkmcnt(0)
	v_add_co_u32 v7, vcc_lo, s0, v2
	v_add_co_ci_u32_e64 v8, null, s1, v3, vcc_lo
	v_add_co_u32 v2, vcc_lo, s4, v5
	v_add_co_ci_u32_e64 v3, null, s5, v6, vcc_lo
	;; [unrolled: 2-line block ×3, first 2 shown]
	v_mov_b32_e32 v5, 0xc0400000
.LBB0_17:                               ; =>This Inner Loop Header: Depth=1
	global_load_dword v6, v[2:3], off
	global_load_dword v7, v4, s[6:7]
	s_add_u32 s4, s12, s10
	s_addc_u32 s5, s13, s11
	s_add_u32 s14, s4, s10
	s_addc_u32 s15, s5, s11
	;; [unrolled: 2-line block ×7, first 2 shown]
	v_add_co_u32 v2, vcc_lo, v2, 4
	v_add_co_ci_u32_e64 v3, null, 0, v3, vcc_lo
	s_waitcnt vmcnt(1)
	global_store_dword v4, v6, s[12:13]
	s_clause 0x2
	global_load_dword v8, v4, s[18:19]
	global_load_dword v9, v4, s[16:17]
	;; [unrolled: 1-line block ×3, first 2 shown]
	global_load_dword v11, v[0:1], off
	v_mul_f32_e32 v12, 0x3f333333, v6
	v_mul_f32_e32 v13, v6, v6
	v_fma_f32 v14, 0x3f333333, v6, -2.0
	v_fmamk_f32 v15, v6, 0x3f333333, v5
	s_add_u32 s18, s16, s30
	v_mul_f32_e32 v16, 0xbfb8aa3b, v12
	v_cmp_nlt_f32_e32 vcc_lo, 0x42ce8ed0, v12
	v_mul_f32_e32 v17, v6, v13
	v_fmaak_f32 v15, v12, v15, 0x40c00000
	v_mul_f32_e32 v18, 0x40400000, v13
	v_fma_f32 v19, 0xbfb8aa3b, v12, -v16
	v_rndne_f32_e32 v20, v16
	global_store_dword v4, v12, s[4:5]
	global_store_dword v4, v13, s[14:15]
	v_mul_f32_e32 v18, v13, v18
	v_fmac_f32_e32 v19, 0xb2a5705f, v12
	v_sub_f32_e32 v16, v16, v20
	v_cvt_i32_f32_e32 v20, v20
	s_addc_u32 s19, s17, s29
	s_add_u32 s20, s18, s10
	s_addc_u32 s21, s19, s11
	v_add_f32_e32 v16, v16, v19
	s_add_u32 s16, s20, s10
	s_addc_u32 s17, s21, s11
	s_add_u32 s22, s16, s10
	s_addc_u32 s23, s17, s11
	v_exp_f32_e32 v16, v16
	s_add_u32 s24, s22, s10
	s_addc_u32 s25, s23, s11
	s_add_u32 s26, s24, s10
	s_addc_u32 s27, s25, s11
	s_add_i32 s9, s9, -1
	s_add_u32 s12, s12, 4
	s_addc_u32 s13, s13, 0
	v_ldexp_f32 v16, v16, v20
	v_cndmask_b32_e32 v16, 0, v16, vcc_lo
	v_cmp_ngt_f32_e32 vcc_lo, 0xc2b17218, v12
	v_cndmask_b32_e32 v16, 0x7f800000, v16, vcc_lo
	v_sub_f32_e32 v16, 1.0, v16
	v_add_f32_e32 v19, v16, v16
	v_mul_f32_e32 v20, 0x40c00000, v16
	v_fma_f32 v21, 0x3f333333, v6, -v16
	global_store_dword v4, v16, s[2:3]
	v_sub_f32_e32 v22, 1.0, v16
	v_div_scale_f32 v23, null, v17, v17, v19
	v_div_scale_f32 v24, vcc_lo, v19, v17, v19
	v_fma_f32 v15, v12, v15, -v20
	v_rcp_f32_e32 v25, v23
	s_waitcnt vmcnt(4)
	v_mul_f32_e32 v20, v7, v22
	v_fma_f32 v26, -v23, v25, 1.0
	v_fmac_f32_e32 v25, v26, v25
	v_mul_f32_e32 v26, v24, v25
	v_fma_f32 v27, -v23, v26, v24
	v_fmac_f32_e32 v26, v27, v25
	v_fma_f32 v23, -v23, v26, v24
	v_div_fmas_f32 v23, v23, v25, v26
	v_div_fixup_f32 v17, v23, v17, v19
	v_fmac_f32_e32 v17, v12, v14
	global_store_dword v4, v17, s[0:1]
	s_waitcnt vmcnt(3)
	v_fma_f32 v14, v6, v7, -v8
	s_waitcnt vmcnt(2)
	v_mul_f32_e32 v9, 0x3e99999a, v9
	v_mul_f32_e32 v19, v8, v16
	s_waitcnt vmcnt(1)
	v_mul_f32_e32 v10, 0x3f666666, v10
	v_mul_f32_e32 v14, v16, v14
	;; [unrolled: 1-line block ×3, first 2 shown]
	v_div_scale_f32 v16, null, v6, v6, v19
	v_mul_f32_e32 v21, v10, v21
	v_fmac_f32_e32 v14, v8, v12
	v_div_scale_f32 v8, null, v18, v18, v15
	v_rcp_f32_e32 v25, v16
	v_div_scale_f32 v26, null, v13, v13, v21
	v_div_scale_f32 v28, null, v13, v13, v14
	v_rcp_f32_e32 v29, v8
	v_rcp_f32_e32 v31, v26
	v_div_scale_f32 v23, s0, v19, v6, v19
	v_rcp_f32_e32 v32, v28
	v_fma_f32 v33, -v16, v25, 1.0
	v_div_scale_f32 v30, vcc_lo, v14, v13, v14
	v_div_scale_f32 v12, s1, v15, v18, v15
	v_fma_f32 v34, -v8, v29, 1.0
	v_fmac_f32_e32 v25, v33, v25
	v_fma_f32 v33, -v26, v31, 1.0
	v_div_scale_f32 v27, s2, v21, v13, v21
	v_fma_f32 v35, -v28, v32, 1.0
	v_fmac_f32_e32 v29, v34, v29
	v_mul_f32_e32 v34, v23, v25
	v_fmac_f32_e32 v31, v33, v31
	v_mul_f32_e32 v24, v9, v17
	;; [unrolled: 2-line block ×3, first 2 shown]
	v_fma_f32 v35, -v16, v34, v23
	v_mul_f32_e32 v36, v27, v31
	v_mul_f32_e32 v37, v30, v32
	v_fma_f32 v38, -v8, v33, v12
	v_fmac_f32_e32 v34, v35, v25
	v_fma_f32 v35, -v26, v36, v27
	v_fma_f32 v39, -v28, v37, v30
	v_fmac_f32_e32 v33, v38, v29
	v_fma_f32 v16, -v16, v34, v23
	v_fmac_f32_e32 v36, v35, v31
	v_fmac_f32_e32 v37, v39, v32
	v_fma_f32 v8, -v8, v33, v12
	v_fma_f32 v12, -v26, v36, v27
	;; [unrolled: 1-line block ×3, first 2 shown]
	v_div_fmas_f32 v23, v23, v32, v37
	s_mov_b32 vcc_lo, s1
	v_div_fmas_f32 v8, v8, v29, v33
	s_mov_b32 vcc_lo, s0
	v_div_fixup_f32 v14, v23, v13, v14
	v_div_fmas_f32 v16, v16, v25, v34
	s_mov_b32 vcc_lo, s2
	v_div_fixup_f32 v8, v8, v18, v15
	v_div_fmas_f32 v12, v12, v31, v36
	v_fmac_f32_e32 v14, v17, v10
	v_div_fixup_f32 v6, v16, v6, v19
	v_div_fixup_f32 v10, v12, v13, v21
	v_add_f32_e32 v8, v14, v8
	v_add_f32_e32 v12, v6, v10
	v_mul_f32_e32 v13, 0.5, v8
	s_waitcnt vmcnt(0)
	v_fmac_f32_e32 v11, 0.5, v8
	global_store_dword v4, v8, s[18:19]
	global_store_dword v4, v13, s[20:21]
	global_store_dword v[0:1], v11, off
	global_store_dword v4, v10, s[22:23]
	global_store_dword v4, v24, s[24:25]
	global_store_dword v4, v20, s[26:27]
	v_fmac_f32_e32 v12, v9, v17
	v_add_co_u32 v0, vcc_lo, v0, 4
	v_add_co_ci_u32_e64 v1, null, 0, v1, vcc_lo
	v_fmac_f32_e32 v12, v7, v22
	global_store_dword v4, v6, s[16:17]
	global_store_dword v4, v12, s[6:7]
	s_add_u32 s6, s6, 4
	s_addc_u32 s7, s7, 0
	s_cmp_lg_u32 s9, 0
	s_cbranch_scc1 .LBB0_17
.LBB0_18:
	s_endpgm
	.section	.rodata,"a",@progbits
	.p2align	6, 0x0
	.amdhsa_kernel _Z3attPKiS0_PfS1_S1_S1_S1_iii
		.amdhsa_group_segment_fixed_size 0
		.amdhsa_private_segment_fixed_size 0
		.amdhsa_kernarg_size 328
		.amdhsa_user_sgpr_count 6
		.amdhsa_user_sgpr_private_segment_buffer 1
		.amdhsa_user_sgpr_dispatch_ptr 0
		.amdhsa_user_sgpr_queue_ptr 0
		.amdhsa_user_sgpr_kernarg_segment_ptr 1
		.amdhsa_user_sgpr_dispatch_id 0
		.amdhsa_user_sgpr_flat_scratch_init 0
		.amdhsa_user_sgpr_private_segment_size 0
		.amdhsa_wavefront_size32 1
		.amdhsa_uses_dynamic_stack 0
		.amdhsa_system_sgpr_private_segment_wavefront_offset 0
		.amdhsa_system_sgpr_workgroup_id_x 1
		.amdhsa_system_sgpr_workgroup_id_y 0
		.amdhsa_system_sgpr_workgroup_id_z 0
		.amdhsa_system_sgpr_workgroup_info 0
		.amdhsa_system_vgpr_workitem_id 0
		.amdhsa_next_free_vgpr 40
		.amdhsa_next_free_sgpr 31
		.amdhsa_reserve_vcc 1
		.amdhsa_reserve_flat_scratch 0
		.amdhsa_float_round_mode_32 0
		.amdhsa_float_round_mode_16_64 0
		.amdhsa_float_denorm_mode_32 3
		.amdhsa_float_denorm_mode_16_64 3
		.amdhsa_dx10_clamp 1
		.amdhsa_ieee_mode 1
		.amdhsa_fp16_overflow 0
		.amdhsa_workgroup_processor_mode 1
		.amdhsa_memory_ordered 1
		.amdhsa_forward_progress 1
		.amdhsa_shared_vgpr_count 0
		.amdhsa_exception_fp_ieee_invalid_op 0
		.amdhsa_exception_fp_denorm_src 0
		.amdhsa_exception_fp_ieee_div_zero 0
		.amdhsa_exception_fp_ieee_overflow 0
		.amdhsa_exception_fp_ieee_underflow 0
		.amdhsa_exception_fp_ieee_inexact 0
		.amdhsa_exception_int_div_zero 0
	.end_amdhsa_kernel
	.text
.Lfunc_end0:
	.size	_Z3attPKiS0_PfS1_S1_S1_S1_iii, .Lfunc_end0-_Z3attPKiS0_PfS1_S1_S1_S1_iii
                                        ; -- End function
	.set _Z3attPKiS0_PfS1_S1_S1_S1_iii.num_vgpr, 40
	.set _Z3attPKiS0_PfS1_S1_S1_S1_iii.num_agpr, 0
	.set _Z3attPKiS0_PfS1_S1_S1_S1_iii.numbered_sgpr, 31
	.set _Z3attPKiS0_PfS1_S1_S1_S1_iii.num_named_barrier, 0
	.set _Z3attPKiS0_PfS1_S1_S1_S1_iii.private_seg_size, 0
	.set _Z3attPKiS0_PfS1_S1_S1_S1_iii.uses_vcc, 1
	.set _Z3attPKiS0_PfS1_S1_S1_S1_iii.uses_flat_scratch, 0
	.set _Z3attPKiS0_PfS1_S1_S1_S1_iii.has_dyn_sized_stack, 0
	.set _Z3attPKiS0_PfS1_S1_S1_S1_iii.has_recursion, 0
	.set _Z3attPKiS0_PfS1_S1_S1_S1_iii.has_indirect_call, 0
	.section	.AMDGPU.csdata,"",@progbits
; Kernel info:
; codeLenInByte = 2408
; TotalNumSgprs: 33
; NumVgprs: 40
; ScratchSize: 0
; MemoryBound: 0
; FloatMode: 240
; IeeeMode: 1
; LDSByteSize: 0 bytes/workgroup (compile time only)
; SGPRBlocks: 0
; VGPRBlocks: 4
; NumSGPRsForWavesPerEU: 33
; NumVGPRsForWavesPerEU: 40
; Occupancy: 16
; WaveLimiterHint : 1
; COMPUTE_PGM_RSRC2:SCRATCH_EN: 0
; COMPUTE_PGM_RSRC2:USER_SGPR: 6
; COMPUTE_PGM_RSRC2:TRAP_HANDLER: 0
; COMPUTE_PGM_RSRC2:TGID_X_EN: 1
; COMPUTE_PGM_RSRC2:TGID_Y_EN: 0
; COMPUTE_PGM_RSRC2:TGID_Z_EN: 0
; COMPUTE_PGM_RSRC2:TIDIG_COMP_CNT: 0
	.text
	.p2alignl 6, 3214868480
	.fill 48, 4, 3214868480
	.section	.AMDGPU.gpr_maximums,"",@progbits
	.set amdgpu.max_num_vgpr, 0
	.set amdgpu.max_num_agpr, 0
	.set amdgpu.max_num_sgpr, 0
	.text
	.type	__hip_cuid_67764f52316bee91,@object ; @__hip_cuid_67764f52316bee91
	.section	.bss,"aw",@nobits
	.globl	__hip_cuid_67764f52316bee91
__hip_cuid_67764f52316bee91:
	.byte	0                               ; 0x0
	.size	__hip_cuid_67764f52316bee91, 1

	.ident	"AMD clang version 22.0.0git (https://github.com/RadeonOpenCompute/llvm-project roc-7.2.4 26084 f58b06dce1f9c15707c5f808fd002e18c2accf7e)"
	.section	".note.GNU-stack","",@progbits
	.addrsig
	.addrsig_sym __hip_cuid_67764f52316bee91
	.amdgpu_metadata
---
amdhsa.kernels:
  - .args:
      - .actual_access:  read_only
        .address_space:  global
        .offset:         0
        .size:           8
        .value_kind:     global_buffer
      - .actual_access:  read_only
        .address_space:  global
        .offset:         8
        .size:           8
        .value_kind:     global_buffer
      - .address_space:  global
        .offset:         16
        .size:           8
        .value_kind:     global_buffer
      - .actual_access:  read_only
        .address_space:  global
        .offset:         24
        .size:           8
        .value_kind:     global_buffer
      - .actual_access:  read_only
        .address_space:  global
        .offset:         32
        .size:           8
        .value_kind:     global_buffer
      - .address_space:  global
        .offset:         40
        .size:           8
        .value_kind:     global_buffer
      - .address_space:  global
        .offset:         48
        .size:           8
        .value_kind:     global_buffer
      - .offset:         56
        .size:           4
        .value_kind:     by_value
      - .offset:         60
        .size:           4
        .value_kind:     by_value
      - .offset:         64
        .size:           4
        .value_kind:     by_value
      - .offset:         72
        .size:           4
        .value_kind:     hidden_block_count_x
      - .offset:         76
        .size:           4
        .value_kind:     hidden_block_count_y
      - .offset:         80
        .size:           4
        .value_kind:     hidden_block_count_z
      - .offset:         84
        .size:           2
        .value_kind:     hidden_group_size_x
      - .offset:         86
        .size:           2
        .value_kind:     hidden_group_size_y
      - .offset:         88
        .size:           2
        .value_kind:     hidden_group_size_z
      - .offset:         90
        .size:           2
        .value_kind:     hidden_remainder_x
      - .offset:         92
        .size:           2
        .value_kind:     hidden_remainder_y
      - .offset:         94
        .size:           2
        .value_kind:     hidden_remainder_z
      - .offset:         112
        .size:           8
        .value_kind:     hidden_global_offset_x
      - .offset:         120
        .size:           8
        .value_kind:     hidden_global_offset_y
      - .offset:         128
        .size:           8
        .value_kind:     hidden_global_offset_z
      - .offset:         136
        .size:           2
        .value_kind:     hidden_grid_dims
    .group_segment_fixed_size: 0
    .kernarg_segment_align: 8
    .kernarg_segment_size: 328
    .language:       OpenCL C
    .language_version:
      - 2
      - 0
    .max_flat_workgroup_size: 1024
    .name:           _Z3attPKiS0_PfS1_S1_S1_S1_iii
    .private_segment_fixed_size: 0
    .sgpr_count:     33
    .sgpr_spill_count: 0
    .symbol:         _Z3attPKiS0_PfS1_S1_S1_S1_iii.kd
    .uniform_work_group_size: 1
    .uses_dynamic_stack: false
    .vgpr_count:     40
    .vgpr_spill_count: 0
    .wavefront_size: 32
    .workgroup_processor_mode: 1
amdhsa.target:   amdgcn-amd-amdhsa--gfx1030
amdhsa.version:
  - 1
  - 2
...

	.end_amdgpu_metadata
